;; amdgpu-corpus repo=ROCm/rocFFT kind=compiled arch=gfx906 opt=O3
	.text
	.amdgcn_target "amdgcn-amd-amdhsa--gfx906"
	.amdhsa_code_object_version 6
	.protected	fft_rtc_back_len1331_factors_11_11_11_wgs_121_tpt_121_sp_op_CI_CI_sbrc_xy_z_aligned ; -- Begin function fft_rtc_back_len1331_factors_11_11_11_wgs_121_tpt_121_sp_op_CI_CI_sbrc_xy_z_aligned
	.globl	fft_rtc_back_len1331_factors_11_11_11_wgs_121_tpt_121_sp_op_CI_CI_sbrc_xy_z_aligned
	.p2align	8
	.type	fft_rtc_back_len1331_factors_11_11_11_wgs_121_tpt_121_sp_op_CI_CI_sbrc_xy_z_aligned,@function
fft_rtc_back_len1331_factors_11_11_11_wgs_121_tpt_121_sp_op_CI_CI_sbrc_xy_z_aligned: ; @fft_rtc_back_len1331_factors_11_11_11_wgs_121_tpt_121_sp_op_CI_CI_sbrc_xy_z_aligned
; %bb.0:
	s_load_dwordx4 s[16:19], s[4:5], 0x10
	s_mov_b32 s7, 0
	s_mov_b32 s31, s7
	s_waitcnt lgkmcnt(0)
	s_load_dwordx4 s[20:23], s[16:17], 0x8
	s_load_dwordx2 s[24:25], s[4:5], 0x0
	s_load_dwordx4 s[0:3], s[4:5], 0x58
	s_load_dwordx2 s[28:29], s[4:5], 0x20
	;; [unrolled: 2-line block ×3, first 2 shown]
	s_waitcnt lgkmcnt(0)
	s_load_dwordx4 s[8:11], s[28:29], 0x0
	s_load_dwordx2 s[16:17], s[28:29], 0x10
	s_mul_i32 s22, s20, s22
	v_cvt_f32_u32_e32 v1, s22
	s_waitcnt lgkmcnt(0)
	s_sub_i32 s11, 0, s22
	v_rcp_iflag_f32_e32 v1, v1
	v_mul_f32_e32 v1, 0x4f7ffffe, v1
	v_cvt_u32_f32_e32 v3, v1
	v_mov_b32_e32 v1, s20
	v_mov_b32_e32 v2, s21
	v_readfirstlane_b32 s15, v3
	s_mul_i32 s11, s11, s15
	s_mul_hi_u32 s11, s15, s11
	s_add_i32 s15, s15, s11
	s_mul_hi_u32 s11, s6, s15
	s_mul_i32 s15, s11, s22
	s_sub_i32 s15, s6, s15
	s_add_i32 s17, s11, 1
	s_sub_i32 s23, s15, s22
	s_cmp_ge_u32 s15, s22
	s_cselect_b32 s11, s17, s11
	s_cselect_b32 s15, s23, s15
	s_add_i32 s17, s11, 1
	s_cmp_ge_u32 s15, s22
	s_cselect_b32 s11, s17, s11
	s_mul_i32 s15, s11, s22
	s_sub_i32 s30, s6, s15
	v_cmp_lt_u64_e32 vcc, s[30:31], v[1:2]
	v_cvt_f32_u32_e32 v1, s20
	s_mov_b64 s[22:23], 0
	s_cbranch_vccnz .LBB0_2
; %bb.1:
	v_rcp_iflag_f32_e32 v2, v1
	s_sub_i32 s15, 0, s20
	v_mul_f32_e32 v2, 0x4f7ffffe, v2
	v_cvt_u32_f32_e32 v2, v2
	v_readfirstlane_b32 s17, v2
	s_mul_i32 s15, s15, s17
	s_mul_hi_u32 s15, s17, s15
	s_add_i32 s17, s17, s15
	s_mul_hi_u32 s15, s30, s17
	s_mul_i32 s22, s15, s20
	s_sub_i32 s22, s30, s22
	s_add_i32 s17, s15, 1
	s_sub_i32 s23, s22, s20
	s_cmp_ge_u32 s22, s20
	s_cselect_b32 s15, s17, s15
	s_cselect_b32 s22, s23, s22
	s_add_i32 s17, s15, 1
	s_cmp_ge_u32 s22, s20
	s_cselect_b32 s22, s17, s15
.LBB0_2:
	v_mov_b32_e32 v2, s20
	v_mov_b32_e32 v3, s21
	v_cmp_lt_u64_e32 vcc, s[6:7], v[2:3]
	s_cbranch_vccnz .LBB0_4
; %bb.3:
	v_rcp_iflag_f32_e32 v1, v1
	s_sub_i32 s7, 0, s20
	v_mul_f32_e32 v1, 0x4f7ffffe, v1
	v_cvt_u32_f32_e32 v1, v1
	v_readfirstlane_b32 s15, v1
	s_mul_i32 s7, s7, s15
	s_mul_hi_u32 s7, s15, s7
	s_add_i32 s15, s15, s7
	s_mul_hi_u32 s7, s6, s15
	s_mul_i32 s7, s7, s20
	s_sub_i32 s6, s6, s7
	s_sub_i32 s7, s6, s20
	s_cmp_ge_u32 s6, s20
	s_cselect_b32 s6, s7, s6
	s_sub_i32 s7, s6, s20
	s_cmp_ge_u32 s6, s20
	s_cselect_b32 s6, s7, s6
.LBB0_4:
	s_load_dwordx2 s[20:21], s[4:5], 0x8
	s_mul_i32 s4, s6, s14
	s_mul_i32 s5, s22, s26
	s_add_i32 s14, s4, s5
	s_mul_i32 s4, s22, s9
	s_mul_hi_u32 s5, s22, s8
	s_add_i32 s5, s5, s4
	s_waitcnt lgkmcnt(0)
	s_lshl_b64 s[20:21], s[20:21], 3
	s_add_u32 s18, s18, s20
	s_addc_u32 s19, s19, s21
	s_load_dwordx2 s[30:31], s[18:19], 0x0
	v_mad_u64_u32 v[1:2], s[34:35], s12, v0, 0
	s_mov_b32 s15, 0
	v_add_u32_e32 v5, 0x79, v0
	s_waitcnt lgkmcnt(0)
	s_mul_i32 s4, s31, s11
	s_mul_hi_u32 s7, s30, s11
	s_add_i32 s31, s7, s4
	s_add_u32 s18, s28, s20
	s_addc_u32 s19, s29, s21
	s_load_dwordx2 s[18:19], s[18:19], 0x0
	v_mad_u64_u32 v[2:3], s[20:21], s13, v0, v[2:3]
	s_lshl_b64 s[20:21], s[14:15], 3
	s_mul_i32 s30, s30, s11
	s_waitcnt lgkmcnt(0)
	s_mul_i32 s4, s19, s11
	s_mul_hi_u32 s7, s18, s11
	s_add_i32 s7, s7, s4
	s_add_u32 s0, s0, s20
	s_addc_u32 s4, s1, s21
	s_lshl_b64 s[20:21], s[30:31], 3
	s_add_u32 s1, s0, s20
	s_addc_u32 s4, s4, s21
	v_mad_u64_u32 v[3:4], s[20:21], s12, v5, 0
	v_lshlrev_b64 v[1:2], 3, v[1:2]
	v_mov_b32_e32 v6, s4
	v_mad_u64_u32 v[4:5], s[20:21], s13, v5, v[4:5]
	v_add_co_u32_e32 v1, vcc, s1, v1
	v_add_u32_e32 v7, 0xf2, v0
	v_addc_co_u32_e32 v2, vcc, v6, v2, vcc
	v_mad_u64_u32 v[5:6], s[20:21], s12, v7, 0
	v_lshlrev_b64 v[3:4], 3, v[3:4]
	v_mov_b32_e32 v8, s4
	v_add_co_u32_e32 v3, vcc, s1, v3
	v_mad_u64_u32 v[6:7], s[20:21], s13, v7, v[6:7]
	v_addc_co_u32_e32 v4, vcc, v8, v4, vcc
	s_movk_i32 s14, 0x3c8
	v_mov_b32_e32 v7, 0xfffffc38
	v_mov_b32_e32 v8, 0x16b
	v_cmp_gt_u32_e32 vcc, s14, v0
	v_cndmask_b32_e32 v7, v7, v8, vcc
	v_add_u32_e32 v9, v0, v7
	v_mad_u64_u32 v[7:8], s[20:21], s12, v9, 0
	v_lshlrev_b64 v[5:6], 3, v[5:6]
	v_mov_b32_e32 v10, s4
	v_add_co_u32_e32 v5, vcc, s1, v5
	v_mad_u64_u32 v[8:9], s[20:21], s13, v9, v[8:9]
	v_addc_co_u32_e32 v6, vcc, v10, v6, vcc
	s_movk_i32 s17, 0x3c7
	v_mov_b32_e32 v18, s26
	v_cmp_lt_u32_e32 vcc, s17, v0
	s_movk_i32 s17, 0x34f
	v_cndmask_b32_e32 v16, 0, v18, vcc
	v_mov_b32_e32 v9, 0xfffffcb1
	v_mov_b32_e32 v10, 0x1e4
	v_cmp_gt_u32_e32 vcc, s17, v0
	v_cndmask_b32_e32 v9, v9, v10, vcc
	v_lshlrev_b64 v[7:8], 3, v[7:8]
	v_add_u32_e32 v12, v0, v9
	v_mad_u64_u32 v[9:10], s[20:21], s12, v12, 0
	v_mov_b32_e32 v17, 0
	v_mov_b32_e32 v11, s4
	v_add_co_u32_e32 v13, vcc, s1, v7
	v_addc_co_u32_e32 v14, vcc, v11, v8, vcc
	v_lshlrev_b64 v[7:8], 3, v[16:17]
	v_mad_u64_u32 v[10:11], s[20:21], s13, v12, v[10:11]
	v_add_co_u32_e32 v7, vcc, v13, v7
	v_addc_co_u32_e32 v8, vcc, v14, v8, vcc
	global_load_dwordx2 v[11:12], v[1:2], off
	global_load_dwordx2 v[13:14], v[3:4], off
	global_load_dwordx2 v[19:20], v[5:6], off
	global_load_dwordx2 v[23:24], v[7:8], off
	s_movk_i32 s19, 0x34e
	v_cmp_lt_u32_e32 vcc, s19, v0
	s_movk_i32 s19, 0x2d6
	v_cndmask_b32_e32 v16, 0, v18, vcc
	v_mov_b32_e32 v3, 0xfffffd2a
	v_mov_b32_e32 v4, 0x25d
	v_cmp_gt_u32_e32 vcc, s19, v0
	v_cndmask_b32_e32 v3, v3, v4, vcc
	v_lshlrev_b64 v[1:2], 3, v[9:10]
	v_add_u32_e32 v6, v0, v3
	v_mad_u64_u32 v[3:4], s[20:21], s12, v6, 0
	v_mov_b32_e32 v5, s4
	v_add_co_u32_e32 v7, vcc, s1, v1
	v_addc_co_u32_e32 v8, vcc, v5, v2, vcc
	v_lshlrev_b64 v[1:2], 3, v[16:17]
	v_mad_u64_u32 v[4:5], s[20:21], s13, v6, v[4:5]
	v_add_co_u32_e32 v1, vcc, v7, v1
	v_addc_co_u32_e32 v2, vcc, v8, v2, vcc
	s_movk_i32 s20, 0x2d5
	s_movk_i32 s19, 0x25d
	v_cmp_lt_u32_e32 vcc, s20, v0
	v_cndmask_b32_e32 v16, 0, v18, vcc
	v_mov_b32_e32 v5, 0xfffffda3
	v_mov_b32_e32 v6, 0x2d6
	v_cmp_gt_u32_e32 vcc, s19, v0
	v_cndmask_b32_e32 v5, v5, v6, vcc
	v_add_u32_e32 v8, v0, v5
	v_lshlrev_b64 v[3:4], 3, v[3:4]
	v_mad_u64_u32 v[5:6], s[20:21], s12, v8, 0
	v_mov_b32_e32 v7, s4
	v_add_co_u32_e32 v9, vcc, s1, v3
	v_addc_co_u32_e32 v10, vcc, v7, v4, vcc
	v_lshlrev_b64 v[3:4], 3, v[16:17]
	v_mad_u64_u32 v[6:7], s[20:21], s13, v8, v[6:7]
	v_add_co_u32_e32 v3, vcc, v9, v3
	v_addc_co_u32_e32 v4, vcc, v10, v4, vcc
	s_movk_i32 s19, 0x25c
	s_movk_i32 s17, 0x1e4
	v_cmp_lt_u32_e32 vcc, s19, v0
	v_cndmask_b32_e32 v16, 0, v18, vcc
	v_lshlrev_b64 v[5:6], 3, v[5:6]
	v_mov_b32_e32 v7, 0xfffffe1c
	v_mov_b32_e32 v8, 0x34f
	v_cmp_gt_u32_e32 vcc, s17, v0
	v_cndmask_b32_e32 v7, v7, v8, vcc
	v_mov_b32_e32 v9, s4
	v_add_u32_e32 v10, v0, v7
	v_add_co_u32_e32 v15, vcc, s1, v5
	v_mad_u64_u32 v[7:8], s[20:21], s12, v10, 0
	v_addc_co_u32_e32 v21, vcc, v9, v6, vcc
	v_lshlrev_b64 v[5:6], 3, v[16:17]
	s_movk_i32 s17, 0x1e3
	v_add_co_u32_e32 v5, vcc, v15, v5
	v_addc_co_u32_e32 v6, vcc, v21, v6, vcc
	s_movk_i32 s14, 0x16b
	v_mad_u64_u32 v[8:9], s[20:21], s13, v10, v[8:9]
	v_cmp_lt_u32_e32 vcc, s17, v0
	v_cndmask_b32_e32 v16, 0, v18, vcc
	v_mov_b32_e32 v9, 0xfffffe95
	v_mov_b32_e32 v10, 0x3c8
	v_cmp_gt_u32_e32 vcc, s14, v0
	v_cndmask_b32_e32 v9, v9, v10, vcc
	v_add_u32_e32 v21, v0, v9
	v_mad_u64_u32 v[9:10], s[20:21], s12, v21, 0
	v_lshlrev_b64 v[7:8], 3, v[7:8]
	v_mov_b32_e32 v15, s4
	v_add_co_u32_e32 v22, vcc, s1, v7
	v_addc_co_u32_e32 v25, vcc, v15, v8, vcc
	v_lshlrev_b64 v[7:8], 3, v[16:17]
	s_waitcnt vmcnt(3)
	v_mad_u64_u32 v[15:16], s[20:21], s13, v21, v[10:11]
	v_add_co_u32_e32 v7, vcc, v22, v7
	v_addc_co_u32_e32 v8, vcc, v25, v8, vcc
	s_movk_i32 s14, 0x16a
	s_movk_i32 s9, 0xf2
	v_mov_b32_e32 v10, v15
	v_cmp_lt_u32_e32 vcc, s14, v0
	global_load_dwordx2 v[25:26], v[1:2], off
	global_load_dwordx2 v[27:28], v[3:4], off
	;; [unrolled: 1-line block ×4, first 2 shown]
	v_cndmask_b32_e32 v16, 0, v18, vcc
	v_lshlrev_b64 v[1:2], 3, v[9:10]
	v_mov_b32_e32 v3, 0xffffff0e
	v_mov_b32_e32 v4, 0x441
	v_cmp_gt_u32_e32 vcc, s9, v0
	v_cndmask_b32_e32 v3, v3, v4, vcc
	v_mov_b32_e32 v5, s4
	v_add_u32_e32 v6, v0, v3
	v_add_co_u32_e32 v7, vcc, s1, v1
	v_mad_u64_u32 v[3:4], s[20:21], s12, v6, 0
	v_addc_co_u32_e32 v8, vcc, v5, v2, vcc
	v_lshlrev_b64 v[1:2], 3, v[16:17]
	s_movk_i32 s9, 0xf1
	v_add_co_u32_e32 v1, vcc, v7, v1
	v_addc_co_u32_e32 v2, vcc, v8, v2, vcc
	s_movk_i32 s0, 0x79
	v_mad_u64_u32 v[4:5], s[20:21], s13, v6, v[4:5]
	v_cmp_lt_u32_e32 vcc, s9, v0
	v_cndmask_b32_e32 v16, 0, v18, vcc
	v_mov_b32_e32 v5, 0xffffff87
	v_mov_b32_e32 v6, 0x4ba
	v_cmp_gt_u32_e32 vcc, s0, v0
	v_cndmask_b32_e32 v5, v5, v6, vcc
	v_add_u32_e32 v8, v0, v5
	v_mad_u64_u32 v[5:6], s[20:21], s12, v8, 0
	v_lshlrev_b64 v[3:4], 3, v[3:4]
	v_mov_b32_e32 v7, s4
	v_add_co_u32_e32 v9, vcc, s1, v3
	v_addc_co_u32_e32 v10, vcc, v7, v4, vcc
	v_mad_u64_u32 v[6:7], s[12:13], s13, v8, v[6:7]
	v_lshlrev_b64 v[3:4], 3, v[16:17]
	s_movk_i32 s9, 0x78
	v_add_co_u32_e32 v3, vcc, v9, v3
	v_addc_co_u32_e32 v4, vcc, v10, v4, vcc
	v_lshlrev_b64 v[5:6], 3, v[5:6]
	v_cmp_lt_u32_e32 vcc, s9, v0
	v_cndmask_b32_e32 v16, 0, v18, vcc
	v_mov_b32_e32 v7, s4
	v_add_co_u32_e32 v8, vcc, s1, v5
	v_addc_co_u32_e32 v7, vcc, v7, v6, vcc
	v_lshlrev_b64 v[5:6], 3, v[16:17]
	v_lshl_add_u32 v18, v0, 3, 0
	v_add_co_u32_e32 v5, vcc, v8, v5
	v_addc_co_u32_e32 v6, vcc, v7, v6, vcc
	global_load_dwordx2 v[7:8], v[1:2], off
	global_load_dwordx2 v[9:10], v[3:4], off
	;; [unrolled: 1-line block ×3, first 2 shown]
	v_mul_u32_u24_e32 v1, 0x21e, v0
	v_add_u32_e32 v21, 0xc00, v18
	v_mul_lo_u16_sdwa v1, v1, s0 dst_sel:DWORD dst_unused:UNUSED_PAD src0_sel:WORD_1 src1_sel:DWORD
	v_add_u32_e32 v22, 0x400, v18
	s_waitcnt vmcnt(7)
	ds_write2_b64 v22, v[19:20], v[23:24] offset0:114 offset1:235
	v_add_u32_e32 v20, 0x1400, v18
	v_add_u32_e32 v19, 0x1c00, v18
	ds_write2_b64 v18, v[11:12], v[13:14] offset1:121
	s_mov_b32 s4, 0x3f575c64
	s_mov_b32 s0, 0x3ed4b147
	;; [unrolled: 1-line block ×5, first 2 shown]
	s_movk_i32 s13, 0x50
	s_mul_i32 s14, s6, s16
	s_mul_i32 s6, s18, s11
	s_waitcnt vmcnt(5)
	ds_write2_b64 v21, v[25:26], v[27:28] offset0:100 offset1:221
	v_sub_u16_e32 v27, v0, v1
	v_lshl_add_u32 v23, v27, 3, 0
	s_waitcnt vmcnt(3)
	ds_write2_b64 v20, v[29:30], v[31:32] offset0:86 offset1:207
	s_waitcnt vmcnt(1)
	ds_write2_b64 v19, v[7:8], v[9:10] offset0:72 offset1:193
	s_waitcnt vmcnt(0)
	ds_write_b64 v18, v[15:16] offset:9680
	s_waitcnt lgkmcnt(0)
	s_barrier
	ds_read2_b64 v[1:4], v23 offset1:121
	v_add_u32_e32 v26, 0x400, v23
	ds_read2_b64 v[5:8], v26 offset0:114 offset1:235
	v_add_u32_e32 v25, 0xc00, v23
	v_add_u32_e32 v24, 0x1400, v23
	ds_read2_b64 v[13:16], v25 offset0:100 offset1:221
	ds_read2_b64 v[9:12], v24 offset0:86 offset1:207
	s_waitcnt lgkmcnt(3)
	v_add_f32_e32 v28, v1, v3
	s_waitcnt lgkmcnt(2)
	v_add_f32_e32 v28, v28, v5
	v_add_f32_e32 v28, v28, v7
	s_waitcnt lgkmcnt(1)
	v_add_f32_e32 v28, v28, v13
	s_waitcnt lgkmcnt(0)
	v_add_f32_e32 v30, v11, v13
	v_sub_f32_e32 v31, v13, v11
	v_add_u32_e32 v13, 0x1c00, v23
	ds_read2_b64 v[33:36], v13 offset0:72 offset1:193
	v_add_f32_e32 v29, v2, v4
	v_add_f32_e32 v29, v29, v6
	;; [unrolled: 1-line block ×4, first 2 shown]
	s_waitcnt lgkmcnt(0)
	v_add_f32_e32 v41, v35, v5
	v_add_f32_e32 v42, v36, v6
	v_sub_f32_e32 v43, v5, v35
	v_sub_f32_e32 v44, v6, v36
	ds_read_b64 v[5:6], v23 offset:9680
	v_add_f32_e32 v29, v29, v16
	v_add_f32_e32 v28, v28, v15
	;; [unrolled: 1-line block ×3, first 2 shown]
	v_sub_f32_e32 v40, v16, v10
	v_add_f32_e32 v10, v29, v10
	v_add_f32_e32 v37, v9, v15
	v_sub_f32_e32 v39, v15, v9
	v_add_f32_e32 v9, v28, v9
	v_add_f32_e32 v10, v10, v12
	;; [unrolled: 1-line block ×4, first 2 shown]
	v_sub_f32_e32 v48, v8, v34
	v_add_f32_e32 v8, v10, v34
	s_waitcnt lgkmcnt(0)
	v_sub_f32_e32 v10, v4, v6
	v_add_f32_e32 v45, v33, v7
	v_sub_f32_e32 v47, v7, v33
	v_add_f32_e32 v7, v9, v33
	v_mul_f32_e32 v11, 0xbf0a6770, v10
	v_mul_f32_e32 v15, 0xbf68dda4, v10
	;; [unrolled: 1-line block ×5, first 2 shown]
	v_add_f32_e32 v7, v7, v35
	v_add_f32_e32 v9, v5, v3
	v_mov_b32_e32 v35, v10
	v_add_f32_e32 v4, v6, v4
	v_add_f32_e32 v32, v12, v14
	v_sub_f32_e32 v14, v14, v12
	v_fma_f32 v12, v9, s4, -v11
	v_fmac_f32_e32 v11, 0x3f575c64, v9
	v_fma_f32 v16, v9, s0, -v15
	v_fmac_f32_e32 v15, 0x3ed4b147, v9
	;; [unrolled: 2-line block ×4, first 2 shown]
	v_fmac_f32_e32 v35, 0xbf75a155, v9
	v_fma_f32 v9, v9, s12, -v10
	v_sub_f32_e32 v3, v3, v5
	v_mul_f32_e32 v10, 0x3f575c64, v4
	v_mul_f32_e32 v49, 0x3ed4b147, v4
	v_mul_f32_e32 v51, 0xbe11bafb, v4
	v_mul_f32_e32 v53, 0xbf27a4f4, v4
	v_mul_f32_e32 v4, 0xbf75a155, v4
	v_add_f32_e32 v8, v8, v36
	v_mov_b32_e32 v36, v10
	v_mov_b32_e32 v50, v49
	;; [unrolled: 1-line block ×5, first 2 shown]
	v_fmac_f32_e32 v4, 0xbe903f40, v3
	v_fmac_f32_e32 v36, 0x3f0a6770, v3
	;; [unrolled: 1-line block ×6, first 2 shown]
	v_add_f32_e32 v56, v2, v4
	v_mul_f32_e32 v4, 0xbf68dda4, v44
	v_fmac_f32_e32 v10, 0xbf0a6770, v3
	v_fmac_f32_e32 v49, 0xbf68dda4, v3
	;; [unrolled: 1-line block ×4, first 2 shown]
	v_add_f32_e32 v3, v1, v11
	v_add_f32_e32 v11, v2, v36
	;; [unrolled: 1-line block ×16, first 2 shown]
	v_fma_f32 v5, v41, s0, -v4
	v_fmac_f32_e32 v4, 0x3ed4b147, v41
	v_mul_f32_e32 v7, 0xbf7d64f0, v48
	v_add_f32_e32 v10, v2, v10
	v_add_f32_e32 v49, v2, v49
	v_add_f32_e32 v51, v2, v51
	v_add_f32_e32 v53, v2, v53
	v_add_f32_e32 v2, v8, v6
	v_add_f32_e32 v3, v4, v3
	v_mul_f32_e32 v6, 0x3ed4b147, v42
	v_fma_f32 v8, v45, s1, -v7
	v_fmac_f32_e32 v7, 0xbe11bafb, v45
	v_mov_b32_e32 v4, v6
	v_add_f32_e32 v3, v7, v3
	v_mul_f32_e32 v7, 0xbe11bafb, v46
	v_fmac_f32_e32 v4, 0x3f68dda4, v43
	v_mov_b32_e32 v9, v7
	v_add_f32_e32 v4, v4, v11
	v_fmac_f32_e32 v9, 0x3f7d64f0, v47
	v_add_f32_e32 v4, v9, v4
	v_mul_f32_e32 v9, 0xbf4178ce, v14
	v_fma_f32 v11, v30, s9, -v9
	v_fmac_f32_e32 v9, 0xbf27a4f4, v30
	v_fmac_f32_e32 v6, 0xbf68dda4, v43
	v_add_f32_e32 v3, v9, v3
	v_mul_f32_e32 v9, 0xbf27a4f4, v32
	v_add_f32_e32 v5, v5, v12
	v_add_f32_e32 v6, v6, v10
	v_fmac_f32_e32 v7, 0xbf7d64f0, v47
	v_mov_b32_e32 v57, v9
	v_add_f32_e32 v5, v8, v5
	v_add_f32_e32 v6, v7, v6
	v_fmac_f32_e32 v9, 0xbf4178ce, v31
	v_mul_f32_e32 v7, 0xbf4178ce, v44
	v_add_f32_e32 v5, v11, v5
	v_add_f32_e32 v6, v9, v6
	v_fma_f32 v9, v41, s9, -v7
	v_fmac_f32_e32 v7, 0xbf27a4f4, v41
	v_mul_f32_e32 v11, 0x3e903f40, v48
	v_add_f32_e32 v7, v7, v15
	v_mul_f32_e32 v10, 0xbf27a4f4, v42
	v_fma_f32 v12, v45, s12, -v11
	v_fmac_f32_e32 v11, 0xbf75a155, v45
	v_mov_b32_e32 v8, v10
	v_add_f32_e32 v7, v11, v7
	v_mul_f32_e32 v11, 0xbf75a155, v46
	v_fmac_f32_e32 v57, 0x3f4178ce, v31
	v_fmac_f32_e32 v8, 0x3f4178ce, v43
	v_mov_b32_e32 v15, v11
	v_add_f32_e32 v4, v57, v4
	v_mul_f32_e32 v57, 0xbe903f40, v40
	v_add_f32_e32 v8, v8, v36
	v_fmac_f32_e32 v15, 0xbe903f40, v47
	v_fma_f32 v58, v37, s12, -v57
	v_fmac_f32_e32 v57, 0xbf75a155, v37
	v_add_f32_e32 v8, v15, v8
	v_mul_f32_e32 v15, 0x3f7d64f0, v14
	v_add_f32_e32 v3, v57, v3
	v_mul_f32_e32 v57, 0xbf75a155, v38
	v_fma_f32 v36, v30, s1, -v15
	v_fmac_f32_e32 v15, 0xbe11bafb, v30
	v_fmac_f32_e32 v10, 0xbf4178ce, v43
	v_mov_b32_e32 v59, v57
	v_fmac_f32_e32 v57, 0xbe903f40, v39
	v_add_f32_e32 v7, v15, v7
	v_mul_f32_e32 v15, 0xbe11bafb, v32
	v_add_f32_e32 v10, v10, v49
	v_fmac_f32_e32 v11, 0x3e903f40, v47
	v_add_f32_e32 v6, v57, v6
	v_mov_b32_e32 v57, v15
	v_add_f32_e32 v10, v11, v10
	v_fmac_f32_e32 v15, 0x3f7d64f0, v31
	v_mul_f32_e32 v11, 0x3e903f40, v44
	v_add_f32_e32 v9, v9, v16
	v_add_f32_e32 v10, v15, v10
	v_fma_f32 v15, v41, s12, -v11
	v_fmac_f32_e32 v11, 0xbf75a155, v41
	v_add_f32_e32 v9, v12, v9
	v_add_f32_e32 v11, v11, v28
	v_mul_f32_e32 v28, 0x3f68dda4, v48
	v_add_f32_e32 v9, v36, v9
	v_mul_f32_e32 v16, 0xbf75a155, v42
	v_fma_f32 v36, v45, s0, -v28
	v_fmac_f32_e32 v28, 0x3ed4b147, v45
	v_mov_b32_e32 v12, v16
	v_add_f32_e32 v11, v28, v11
	v_mul_f32_e32 v28, 0x3ed4b147, v46
	v_fmac_f32_e32 v57, 0xbf7d64f0, v31
	v_fmac_f32_e32 v12, 0xbe903f40, v43
	v_mov_b32_e32 v49, v28
	v_add_f32_e32 v8, v57, v8
	v_mul_f32_e32 v57, 0x3f0a6770, v40
	v_add_f32_e32 v12, v12, v50
	v_fmac_f32_e32 v49, 0xbf68dda4, v47
	v_add_f32_e32 v5, v58, v5
	v_fma_f32 v58, v37, s4, -v57
	v_fmac_f32_e32 v57, 0x3f575c64, v37
	v_add_f32_e32 v12, v49, v12
	v_mul_f32_e32 v49, 0xbf0a6770, v14
	v_fmac_f32_e32 v59, 0x3e903f40, v39
	v_add_f32_e32 v7, v57, v7
	v_mul_f32_e32 v57, 0x3f575c64, v38
	v_fma_f32 v50, v30, s4, -v49
	v_fmac_f32_e32 v49, 0x3f575c64, v30
	v_fmac_f32_e32 v16, 0x3e903f40, v43
	v_add_f32_e32 v4, v59, v4
	v_mov_b32_e32 v59, v57
	v_fmac_f32_e32 v57, 0x3f0a6770, v39
	v_add_f32_e32 v11, v49, v11
	v_mul_f32_e32 v49, 0x3f575c64, v32
	v_add_f32_e32 v16, v16, v51
	v_fmac_f32_e32 v28, 0x3f68dda4, v47
	v_add_f32_e32 v10, v57, v10
	v_mov_b32_e32 v57, v49
	v_add_f32_e32 v15, v15, v29
	v_add_f32_e32 v16, v28, v16
	v_fmac_f32_e32 v49, 0xbf0a6770, v31
	v_mul_f32_e32 v28, 0x3f7d64f0, v44
	v_add_f32_e32 v15, v36, v15
	v_add_f32_e32 v16, v49, v16
	v_fma_f32 v36, v41, s1, -v28
	v_fmac_f32_e32 v28, 0xbe11bafb, v41
	v_mul_f32_e32 v49, 0xbf0a6770, v48
	v_add_f32_e32 v15, v50, v15
	v_add_f32_e32 v28, v28, v33
	v_mul_f32_e32 v33, 0xbe11bafb, v42
	v_fma_f32 v50, v45, s4, -v49
	v_fmac_f32_e32 v49, 0x3f575c64, v45
	v_mov_b32_e32 v29, v33
	v_add_f32_e32 v28, v49, v28
	v_mul_f32_e32 v49, 0x3f575c64, v46
	v_fmac_f32_e32 v57, 0x3f0a6770, v31
	v_fmac_f32_e32 v29, 0xbf7d64f0, v43
	v_mov_b32_e32 v51, v49
	v_add_f32_e32 v12, v57, v12
	v_mul_f32_e32 v57, 0xbf4178ce, v40
	v_add_f32_e32 v29, v29, v52
	v_fmac_f32_e32 v51, 0x3f0a6770, v47
	v_add_f32_e32 v9, v58, v9
	v_fma_f32 v58, v37, s9, -v57
	v_fmac_f32_e32 v57, 0xbf27a4f4, v37
	v_add_f32_e32 v29, v51, v29
	v_mul_f32_e32 v51, 0xbe903f40, v14
	v_fmac_f32_e32 v59, 0xbf0a6770, v39
	v_add_f32_e32 v11, v57, v11
	v_mul_f32_e32 v57, 0xbf27a4f4, v38
	v_fma_f32 v52, v30, s12, -v51
	v_fmac_f32_e32 v51, 0xbf75a155, v30
	v_add_f32_e32 v8, v59, v8
	v_mov_b32_e32 v59, v57
	v_fmac_f32_e32 v57, 0xbf4178ce, v39
	v_add_f32_e32 v28, v51, v28
	v_mul_f32_e32 v51, 0xbf75a155, v32
	v_add_f32_e32 v16, v57, v16
	v_mov_b32_e32 v57, v51
	v_fmac_f32_e32 v57, 0x3e903f40, v31
	v_add_f32_e32 v29, v57, v29
	v_mul_f32_e32 v57, 0x3f68dda4, v40
	v_fmac_f32_e32 v33, 0x3f7d64f0, v43
	v_add_f32_e32 v15, v58, v15
	v_fma_f32 v58, v37, s0, -v57
	v_fmac_f32_e32 v57, 0x3ed4b147, v37
	v_add_f32_e32 v34, v36, v34
	v_add_f32_e32 v33, v33, v53
	v_fmac_f32_e32 v49, 0xbf0a6770, v47
	v_fmac_f32_e32 v59, 0x3f4178ce, v39
	v_add_f32_e32 v28, v57, v28
	v_mul_f32_e32 v57, 0x3ed4b147, v38
	v_add_f32_e32 v34, v50, v34
	v_add_f32_e32 v33, v49, v33
	v_fmac_f32_e32 v51, 0xbe903f40, v31
	v_add_f32_e32 v12, v59, v12
	v_mov_b32_e32 v59, v57
	v_add_f32_e32 v34, v52, v34
	v_add_f32_e32 v36, v51, v33
	v_fmac_f32_e32 v57, 0x3f68dda4, v39
	v_mul_f32_e32 v44, 0x3f0a6770, v44
	v_add_f32_e32 v33, v58, v34
	v_add_f32_e32 v34, v57, v36
	v_mov_b32_e32 v36, v44
	v_mul_f32_e32 v48, 0xbf4178ce, v48
	v_fmac_f32_e32 v36, 0x3f575c64, v41
	v_mul_f32_e32 v42, 0x3f575c64, v42
	v_mov_b32_e32 v49, v48
	v_add_f32_e32 v35, v36, v35
	v_mov_b32_e32 v36, v42
	v_fmac_f32_e32 v49, 0xbf27a4f4, v45
	v_mul_f32_e32 v46, 0xbf27a4f4, v46
	v_fmac_f32_e32 v36, 0xbf0a6770, v43
	v_add_f32_e32 v35, v49, v35
	v_mov_b32_e32 v49, v46
	v_add_f32_e32 v36, v36, v54
	v_fmac_f32_e32 v49, 0x3f4178ce, v47
	v_mul_f32_e32 v14, 0x3f68dda4, v14
	v_add_f32_e32 v36, v49, v36
	v_mov_b32_e32 v49, v14
	v_fmac_f32_e32 v49, 0x3ed4b147, v30
	v_mul_f32_e32 v32, 0x3ed4b147, v32
	v_add_f32_e32 v35, v49, v35
	v_mov_b32_e32 v49, v32
	v_fmac_f32_e32 v49, 0xbf68dda4, v31
	v_mul_f32_e32 v40, 0xbf7d64f0, v40
	v_fma_f32 v41, v41, s4, -v44
	v_add_f32_e32 v36, v49, v36
	v_mov_b32_e32 v49, v40
	v_add_f32_e32 v41, v41, v55
	v_fmac_f32_e32 v42, 0x3f0a6770, v43
	v_fma_f32 v43, v45, s9, -v48
	v_fmac_f32_e32 v49, 0xbe11bafb, v37
	v_mul_f32_e32 v38, 0xbe11bafb, v38
	v_add_f32_e32 v42, v42, v56
	v_add_f32_e32 v41, v43, v41
	v_fmac_f32_e32 v46, 0xbf4178ce, v47
	v_fma_f32 v14, v30, s0, -v14
	v_add_f32_e32 v35, v49, v35
	v_mov_b32_e32 v49, v38
	v_add_f32_e32 v42, v46, v42
	v_add_f32_e32 v14, v14, v41
	v_fmac_f32_e32 v32, 0x3f68dda4, v31
	v_fma_f32 v30, v37, s1, -v40
	v_fmac_f32_e32 v59, 0xbf68dda4, v39
	v_fmac_f32_e32 v49, 0x3f7d64f0, v39
	v_add_f32_e32 v31, v32, v42
	v_fmac_f32_e32 v38, 0xbf7d64f0, v39
	v_add_f32_e32 v30, v30, v14
	v_mad_u32_u24 v14, v27, s13, v23
	v_add_f32_e32 v29, v59, v29
	v_add_f32_e32 v36, v49, v36
	;; [unrolled: 1-line block ×3, first 2 shown]
	s_barrier
	ds_write2_b64 v14, v[1:2], v[3:4] offset1:1
	ds_write2_b64 v14, v[7:8], v[11:12] offset0:2 offset1:3
	ds_write2_b64 v14, v[28:29], v[35:36] offset0:4 offset1:5
	;; [unrolled: 1-line block ×4, first 2 shown]
	ds_write_b64 v14, v[5:6] offset:80
	v_mul_lo_u16_e32 v1, 0xbb, v27
	v_lshrrev_b16_e32 v3, 11, v1
	v_mul_lo_u16_e32 v1, 11, v3
	v_sub_u16_e32 v4, v27, v1
	v_mov_b32_e32 v1, 10
	v_mul_u32_u24_sdwa v1, v4, v1 dst_sel:DWORD dst_unused:UNUSED_PAD src0_sel:BYTE_0 src1_sel:DWORD
	v_lshlrev_b32_e32 v1, 3, v1
	s_waitcnt lgkmcnt(0)
	s_barrier
	global_load_dwordx4 v[8:11], v1, s[24:25] offset:32
	global_load_dwordx4 v[28:31], v1, s[24:25] offset:48
	;; [unrolled: 1-line block ×4, first 2 shown]
	global_load_dwordx4 v[40:43], v1, s[24:25]
	ds_read2_b64 v[44:47], v24 offset0:86 offset1:207
	ds_read2_b64 v[48:51], v13 offset0:72 offset1:193
	v_mul_u32_u24_e32 v3, 0x3c8, v3
	s_waitcnt vmcnt(4) lgkmcnt(1)
	v_mul_f32_e32 v1, v44, v11
	v_fma_f32 v6, v45, v10, -v1
	s_waitcnt vmcnt(3)
	v_mul_f32_e32 v1, v46, v29
	v_mul_f32_e32 v5, v45, v11
	v_fma_f32 v11, v47, v28, -v1
	s_waitcnt lgkmcnt(0)
	v_mul_f32_e32 v52, v49, v31
	v_mul_f32_e32 v1, v48, v31
	v_fmac_f32_e32 v52, v48, v30
	v_fma_f32 v48, v49, v30, -v1
	ds_read_b64 v[1:2], v23 offset:9680
	v_fmac_f32_e32 v5, v44, v10
	v_mul_f32_e32 v10, v47, v29
	v_fmac_f32_e32 v10, v46, v28
	ds_read2_b64 v[28:31], v25 offset0:100 offset1:221
	s_waitcnt vmcnt(2)
	v_mul_f32_e32 v49, v51, v33
	v_mul_f32_e32 v7, v50, v33
	v_fmac_f32_e32 v49, v50, v32
	v_fma_f32 v50, v51, v32, -v7
	s_waitcnt lgkmcnt(1)
	v_mul_f32_e32 v51, v2, v35
	v_fmac_f32_e32 v51, v1, v34
	v_mul_f32_e32 v1, v1, v35
	v_fma_f32 v2, v2, v34, -v1
	s_waitcnt lgkmcnt(0)
	v_mul_f32_e32 v7, v9, v31
	v_mul_f32_e32 v1, v9, v30
	v_fmac_f32_e32 v7, v8, v30
	v_fma_f32 v8, v8, v31, -v1
	ds_read2_b64 v[30:33], v26 offset0:114 offset1:235
	ds_read2_b64 v[44:47], v23 offset1:121
	s_waitcnt vmcnt(1)
	v_mul_f32_e32 v16, v39, v29
	v_mul_f32_e32 v1, v39, v28
	v_fmac_f32_e32 v16, v38, v28
	v_fma_f32 v28, v38, v29, -v1
	s_waitcnt lgkmcnt(1)
	v_mul_f32_e32 v1, v37, v32
	v_fma_f32 v53, v36, v33, -v1
	s_waitcnt vmcnt(0)
	v_mul_f32_e32 v1, v43, v30
	s_waitcnt lgkmcnt(0)
	v_mul_f32_e32 v9, v41, v46
	v_mul_f32_e32 v39, v37, v33
	v_fma_f32 v38, v42, v31, -v1
	v_mul_f32_e32 v1, v41, v47
	v_fma_f32 v9, v40, v47, -v9
	v_fmac_f32_e32 v39, v36, v32
	v_mul_f32_e32 v32, v43, v31
	v_fmac_f32_e32 v1, v40, v46
	v_sub_f32_e32 v14, v9, v2
	v_fmac_f32_e32 v32, v42, v30
	v_add_f32_e32 v12, v1, v51
	v_mul_f32_e32 v30, 0xbf68dda4, v14
	v_fma_f32 v31, v12, s0, -v30
	v_add_f32_e32 v58, v9, v45
	v_add_f32_e32 v63, v31, v44
	;; [unrolled: 1-line block ×3, first 2 shown]
	v_mul_f32_e32 v15, 0xbf0a6770, v14
	v_mul_f32_e32 v33, 0xbf7d64f0, v14
	;; [unrolled: 1-line block ×4, first 2 shown]
	v_sub_f32_e32 v35, v1, v51
	v_add_f32_e32 v1, v1, v44
	v_add_f32_e32 v31, v31, v53
	v_mov_b32_e32 v41, v14
	v_add_f32_e32 v1, v1, v32
	v_add_f32_e32 v31, v31, v28
	v_fma_f32 v29, v12, s4, -v15
	v_fmac_f32_e32 v15, 0x3f575c64, v12
	v_fmac_f32_e32 v30, 0x3ed4b147, v12
	v_fma_f32 v34, v12, s1, -v33
	v_fmac_f32_e32 v33, 0xbe11bafb, v12
	v_fma_f32 v40, v12, s9, -v37
	v_fmac_f32_e32 v37, 0xbf27a4f4, v12
	v_fmac_f32_e32 v41, 0xbf75a155, v12
	v_fma_f32 v12, v12, s12, -v14
	v_add_f32_e32 v14, v9, v2
	v_add_f32_e32 v1, v1, v39
	;; [unrolled: 1-line block ×3, first 2 shown]
	v_mul_f32_e32 v36, 0x3f575c64, v14
	v_add_f32_e32 v1, v1, v16
	v_add_f32_e32 v31, v31, v6
	v_mov_b32_e32 v42, v36
	v_fmac_f32_e32 v36, 0xbf0a6770, v35
	v_mul_f32_e32 v43, 0x3ed4b147, v14
	v_mul_f32_e32 v47, 0xbe11bafb, v14
	;; [unrolled: 1-line block ×4, first 2 shown]
	v_add_f32_e32 v1, v1, v7
	v_add_f32_e32 v31, v31, v11
	v_mov_b32_e32 v46, v43
	v_mov_b32_e32 v54, v47
	;; [unrolled: 1-line block ×4, first 2 shown]
	v_add_f32_e32 v61, v36, v45
	v_add_f32_e32 v36, v34, v44
	v_add_f32_e32 v34, v37, v44
	v_add_f32_e32 v1, v1, v5
	v_add_f32_e32 v31, v31, v48
	v_add_f32_e32 v37, v38, v50
	v_fmac_f32_e32 v42, 0x3f0a6770, v35
	v_fmac_f32_e32 v46, 0x3f68dda4, v35
	;; [unrolled: 1-line block ×9, first 2 shown]
	v_add_f32_e32 v59, v15, v44
	v_add_f32_e32 v60, v29, v44
	;; [unrolled: 1-line block ×9, first 2 shown]
	v_mul_f32_e32 v44, 0x3ed4b147, v37
	v_add_f32_e32 v42, v42, v45
	v_add_f32_e32 v46, v46, v45
	;; [unrolled: 1-line block ×12, first 2 shown]
	v_sub_f32_e32 v32, v32, v49
	v_sub_f32_e32 v38, v38, v50
	v_mov_b32_e32 v45, v44
	v_add_f32_e32 v1, v1, v49
	v_mul_f32_e32 v40, 0xbf68dda4, v38
	v_fmac_f32_e32 v45, 0x3f68dda4, v32
	v_add_f32_e32 v49, v53, v48
	v_sub_f32_e32 v48, v53, v48
	v_fma_f32 v41, v31, s0, -v40
	v_fmac_f32_e32 v40, 0x3ed4b147, v31
	v_add_f32_e32 v42, v45, v42
	v_add_f32_e32 v45, v39, v52
	v_sub_f32_e32 v47, v39, v52
	v_mul_f32_e32 v39, 0xbf7d64f0, v48
	v_add_f32_e32 v40, v40, v59
	v_fma_f32 v50, v45, s1, -v39
	v_fmac_f32_e32 v39, 0xbe11bafb, v45
	v_add_f32_e32 v39, v39, v40
	v_mul_f32_e32 v40, 0xbe11bafb, v49
	v_add_f32_e32 v1, v1, v51
	v_mov_b32_e32 v51, v40
	v_fmac_f32_e32 v51, 0x3f7d64f0, v47
	v_sub_f32_e32 v53, v28, v11
	v_add_f32_e32 v42, v51, v42
	v_add_f32_e32 v51, v16, v10
	v_sub_f32_e32 v16, v16, v10
	v_add_f32_e32 v52, v28, v11
	v_mul_f32_e32 v10, 0xbf4178ce, v53
	v_sub_f32_e32 v58, v8, v6
	v_fma_f32 v11, v51, s9, -v10
	v_fmac_f32_e32 v10, 0xbf27a4f4, v51
	v_mul_f32_e32 v28, 0xbf27a4f4, v52
	v_add_f32_e32 v55, v7, v5
	v_sub_f32_e32 v56, v7, v5
	v_add_f32_e32 v57, v8, v6
	v_mul_f32_e32 v5, 0xbe903f40, v58
	v_add_f32_e32 v10, v10, v39
	v_mov_b32_e32 v39, v28
	v_fma_f32 v7, v55, s12, -v5
	v_fmac_f32_e32 v5, 0xbf75a155, v55
	v_mul_f32_e32 v8, 0xbf75a155, v57
	v_fmac_f32_e32 v39, 0x3f4178ce, v16
	v_add_f32_e32 v5, v5, v10
	v_mov_b32_e32 v6, v8
	v_add_f32_e32 v10, v41, v60
	v_add_f32_e32 v39, v39, v42
	v_fmac_f32_e32 v6, 0x3e903f40, v56
	v_fmac_f32_e32 v44, 0xbf68dda4, v32
	v_add_f32_e32 v10, v50, v10
	v_add_f32_e32 v6, v6, v39
	;; [unrolled: 1-line block ×3, first 2 shown]
	v_fmac_f32_e32 v40, 0xbf7d64f0, v47
	v_add_f32_e32 v10, v11, v10
	v_add_f32_e32 v39, v40, v39
	v_fmac_f32_e32 v28, 0xbf4178ce, v16
	v_add_f32_e32 v7, v7, v10
	v_mul_f32_e32 v10, 0xbf4178ce, v38
	v_add_f32_e32 v11, v28, v39
	v_fma_f32 v28, v31, s9, -v10
	v_fmac_f32_e32 v10, 0xbf27a4f4, v31
	v_mul_f32_e32 v40, 0x3e903f40, v48
	v_fmac_f32_e32 v8, 0xbe903f40, v56
	v_add_f32_e32 v10, v10, v62
	v_mul_f32_e32 v39, 0xbf27a4f4, v37
	v_fma_f32 v41, v45, s12, -v40
	v_fmac_f32_e32 v40, 0xbf75a155, v45
	v_add_f32_e32 v8, v8, v11
	v_mov_b32_e32 v11, v39
	v_add_f32_e32 v10, v40, v10
	v_mul_f32_e32 v40, 0xbf75a155, v49
	v_fmac_f32_e32 v11, 0x3f4178ce, v32
	v_mov_b32_e32 v42, v40
	v_add_f32_e32 v11, v11, v46
	v_fmac_f32_e32 v42, 0xbe903f40, v47
	v_add_f32_e32 v11, v42, v11
	v_mul_f32_e32 v42, 0x3f7d64f0, v53
	v_fma_f32 v44, v51, s1, -v42
	v_fmac_f32_e32 v42, 0xbe11bafb, v51
	v_add_f32_e32 v10, v42, v10
	v_mul_f32_e32 v42, 0xbe11bafb, v52
	v_mov_b32_e32 v46, v42
	v_fmac_f32_e32 v46, 0xbf7d64f0, v16
	v_add_f32_e32 v28, v28, v63
	v_fmac_f32_e32 v39, 0xbf4178ce, v32
	v_add_f32_e32 v11, v46, v11
	v_mul_f32_e32 v46, 0x3f0a6770, v58
	v_add_f32_e32 v39, v39, v43
	v_add_f32_e32 v28, v41, v28
	v_fmac_f32_e32 v40, 0x3e903f40, v47
	v_fma_f32 v50, v55, s4, -v46
	v_fmac_f32_e32 v46, 0x3f575c64, v55
	v_add_f32_e32 v39, v40, v39
	v_add_f32_e32 v28, v44, v28
	v_fmac_f32_e32 v42, 0x3f7d64f0, v16
	v_add_f32_e32 v10, v46, v10
	v_mul_f32_e32 v46, 0x3f575c64, v57
	v_add_f32_e32 v40, v42, v39
	v_add_f32_e32 v39, v50, v28
	v_mul_f32_e32 v28, 0x3e903f40, v38
	v_mov_b32_e32 v59, v46
	v_fmac_f32_e32 v46, 0x3f0a6770, v56
	v_fma_f32 v43, v31, s12, -v28
	v_fmac_f32_e32 v28, 0xbf75a155, v31
	v_mul_f32_e32 v44, 0xbf75a155, v37
	v_mul_f32_e32 v42, 0x3f68dda4, v48
	v_add_f32_e32 v40, v46, v40
	v_add_f32_e32 v28, v28, v64
	v_mov_b32_e32 v41, v44
	v_fma_f32 v46, v45, s0, -v42
	v_fmac_f32_e32 v42, 0x3ed4b147, v45
	v_mul_f32_e32 v50, 0x3ed4b147, v49
	v_fmac_f32_e32 v41, 0xbe903f40, v32
	v_add_f32_e32 v28, v42, v28
	v_mov_b32_e32 v42, v50
	v_add_f32_e32 v41, v41, v54
	v_fmac_f32_e32 v42, 0xbf68dda4, v47
	v_fmac_f32_e32 v59, 0xbf0a6770, v56
	v_add_f32_e32 v41, v42, v41
	v_mul_f32_e32 v42, 0xbf0a6770, v53
	v_add_f32_e32 v11, v59, v11
	v_fma_f32 v54, v51, s4, -v42
	v_fmac_f32_e32 v42, 0x3f575c64, v51
	v_mul_f32_e32 v59, 0x3f575c64, v52
	v_add_f32_e32 v28, v42, v28
	v_mov_b32_e32 v42, v59
	v_fmac_f32_e32 v42, 0x3f0a6770, v16
	v_add_f32_e32 v42, v42, v41
	v_mul_f32_e32 v41, 0xbf4178ce, v58
	v_fmac_f32_e32 v44, 0x3e903f40, v32
	v_fma_f32 v60, v55, s9, -v41
	v_fmac_f32_e32 v41, 0xbf27a4f4, v55
	v_add_f32_e32 v36, v43, v36
	v_add_f32_e32 v35, v44, v35
	v_fmac_f32_e32 v50, 0x3f68dda4, v47
	v_add_f32_e32 v41, v41, v28
	v_mul_f32_e32 v28, 0xbf27a4f4, v57
	v_add_f32_e32 v36, v46, v36
	v_add_f32_e32 v35, v50, v35
	v_fmac_f32_e32 v59, 0xbf0a6770, v16
	v_mov_b32_e32 v61, v28
	v_add_f32_e32 v36, v54, v36
	v_add_f32_e32 v43, v59, v35
	v_fmac_f32_e32 v28, 0xbf4178ce, v56
	v_add_f32_e32 v35, v60, v36
	v_add_f32_e32 v36, v28, v43
	v_mul_f32_e32 v28, 0x3f7d64f0, v38
	v_fma_f32 v43, v31, s1, -v28
	v_fmac_f32_e32 v28, 0xbe11bafb, v31
	v_mul_f32_e32 v44, 0xbe11bafb, v37
	v_add_f32_e32 v28, v28, v34
	v_mov_b32_e32 v34, v44
	v_fmac_f32_e32 v34, 0xbf7d64f0, v32
	v_add_f32_e32 v33, v34, v33
	v_mul_f32_e32 v34, 0xbf0a6770, v48
	v_fma_f32 v46, v45, s4, -v34
	v_fmac_f32_e32 v34, 0x3f575c64, v45
	v_mul_f32_e32 v50, 0x3f575c64, v49
	v_add_f32_e32 v28, v34, v28
	v_mov_b32_e32 v34, v50
	v_fmac_f32_e32 v34, 0x3f0a6770, v47
	;; [unrolled: 8-line block ×3, first 2 shown]
	v_fmac_f32_e32 v61, 0x3f4178ce, v56
	v_add_f32_e32 v34, v34, v33
	v_mul_f32_e32 v33, 0x3f68dda4, v58
	v_add_f32_e32 v42, v61, v42
	v_fma_f32 v60, v55, s0, -v33
	v_fmac_f32_e32 v33, 0x3ed4b147, v55
	v_mul_f32_e32 v61, 0x3ed4b147, v57
	v_add_f32_e32 v33, v33, v28
	v_mov_b32_e32 v28, v61
	v_fmac_f32_e32 v28, 0xbf68dda4, v56
	v_add_f32_e32 v34, v28, v34
	v_add_f32_e32 v28, v43, v30
	v_mul_f32_e32 v30, 0x3f0a6770, v38
	v_mov_b32_e32 v38, v30
	v_fmac_f32_e32 v38, 0x3f575c64, v31
	v_mul_f32_e32 v37, 0x3f575c64, v37
	v_add_f32_e32 v15, v38, v15
	v_mov_b32_e32 v38, v37
	v_fmac_f32_e32 v38, 0xbf0a6770, v32
	v_add_f32_e32 v14, v38, v14
	v_mul_f32_e32 v38, 0xbf4178ce, v48
	v_mov_b32_e32 v43, v38
	v_fmac_f32_e32 v43, 0xbf27a4f4, v45
	v_fmac_f32_e32 v44, 0x3f7d64f0, v32
	v_add_f32_e32 v15, v43, v15
	v_mul_f32_e32 v43, 0xbf27a4f4, v49
	v_add_f32_e32 v29, v44, v29
	v_mov_b32_e32 v44, v43
	v_fmac_f32_e32 v44, 0x3f4178ce, v47
	v_add_f32_e32 v14, v44, v14
	v_mul_f32_e32 v44, 0x3f68dda4, v53
	v_add_f32_e32 v28, v46, v28
	v_mov_b32_e32 v46, v44
	v_fmac_f32_e32 v46, 0x3ed4b147, v51
	v_add_f32_e32 v15, v46, v15
	v_mul_f32_e32 v46, 0x3ed4b147, v52
	v_fma_f32 v30, v31, s4, -v30
	v_mov_b32_e32 v48, v46
	v_add_f32_e32 v9, v30, v9
	v_fma_f32 v30, v45, s9, -v38
	v_fmac_f32_e32 v48, 0xbf68dda4, v16
	v_mul_f32_e32 v49, 0xbf7d64f0, v58
	v_add_f32_e32 v9, v30, v9
	v_fma_f32 v30, v51, s0, -v44
	v_fmac_f32_e32 v50, 0xbf0a6770, v47
	v_fmac_f32_e32 v59, 0xbe903f40, v16
	v_add_f32_e32 v48, v48, v14
	v_mov_b32_e32 v14, v49
	v_fmac_f32_e32 v37, 0x3f0a6770, v32
	v_add_f32_e32 v9, v30, v9
	v_fmac_f32_e32 v46, 0x3f68dda4, v16
	v_fma_f32 v16, v55, s1, -v49
	v_add_f32_e32 v29, v50, v29
	v_fmac_f32_e32 v14, 0xbe11bafb, v55
	v_mul_f32_e32 v50, 0xbe11bafb, v57
	v_add_f32_e32 v12, v37, v12
	v_fmac_f32_e32 v43, 0xbf4178ce, v47
	v_add_f32_e32 v30, v16, v9
	v_mov_b32_e32 v9, 3
	v_add_f32_e32 v14, v14, v15
	v_mov_b32_e32 v15, v50
	v_add_f32_e32 v12, v43, v12
	v_lshlrev_b32_sdwa v4, v9, v4 dst_sel:DWORD dst_unused:UNUSED_PAD src0_sel:DWORD src1_sel:BYTE_0
	v_add_f32_e32 v28, v54, v28
	v_add_f32_e32 v29, v59, v29
	v_fmac_f32_e32 v61, 0x3f68dda4, v56
	v_fmac_f32_e32 v15, 0x3f7d64f0, v56
	v_add_f32_e32 v12, v46, v12
	v_fmac_f32_e32 v50, 0xbf7d64f0, v56
	v_add3_u32 v3, 0, v3, v4
	v_add_f32_e32 v28, v60, v28
	v_add_f32_e32 v29, v61, v29
	;; [unrolled: 1-line block ×4, first 2 shown]
	s_barrier
	ds_write2_b64 v3, v[1:2], v[5:6] offset1:11
	ds_write2_b64 v3, v[10:11], v[41:42] offset0:22 offset1:33
	ds_write2_b64 v3, v[33:34], v[14:15] offset0:44 offset1:55
	;; [unrolled: 1-line block ×4, first 2 shown]
	ds_write_b64 v3, v[7:8] offset:880
	v_mul_u32_u24_e32 v1, 10, v27
	v_lshlrev_b32_e32 v1, 3, v1
	s_waitcnt lgkmcnt(0)
	s_barrier
	global_load_dwordx4 v[7:10], v1, s[24:25] offset:912
	global_load_dwordx4 v[27:30], v1, s[24:25] offset:928
	;; [unrolled: 1-line block ×5, first 2 shown]
	ds_read2_b64 v[46:49], v25 offset0:100 offset1:221
	ds_read2_b64 v[50:53], v24 offset0:86 offset1:207
	s_waitcnt vmcnt(4) lgkmcnt(1)
	v_mul_f32_e32 v1, v8, v48
	v_mul_f32_e32 v4, v8, v49
	v_fma_f32 v3, v7, v49, -v1
	s_waitcnt lgkmcnt(0)
	v_mul_f32_e32 v8, v51, v10
	v_mul_f32_e32 v1, v50, v10
	v_fmac_f32_e32 v4, v7, v48
	v_fmac_f32_e32 v8, v50, v9
	v_fma_f32 v7, v51, v9, -v1
	ds_read2_b64 v[9:12], v13 offset0:72 offset1:193
	s_waitcnt vmcnt(3)
	v_mul_f32_e32 v1, v52, v28
	v_fma_f32 v32, v53, v27, -v1
	v_mul_f32_e32 v33, v53, v28
	v_fmac_f32_e32 v33, v52, v27
	s_waitcnt lgkmcnt(0)
	v_mul_f32_e32 v1, v9, v30
	v_fma_f32 v51, v10, v29, -v1
	ds_read_b64 v[1:2], v23 offset:9680
	v_mul_f32_e32 v50, v10, v30
	s_waitcnt vmcnt(2)
	v_mul_f32_e32 v27, v12, v35
	v_mul_f32_e32 v5, v11, v35
	v_fmac_f32_e32 v50, v9, v29
	s_waitcnt lgkmcnt(0)
	v_mul_f32_e32 v16, v2, v37
	v_fmac_f32_e32 v16, v1, v36
	v_mul_f32_e32 v1, v1, v37
	v_fma_f32 v2, v2, v36, -v1
	s_waitcnt vmcnt(1)
	v_mul_f32_e32 v37, v41, v47
	v_mul_f32_e32 v1, v41, v46
	v_fmac_f32_e32 v27, v11, v34
	v_fma_f32 v31, v12, v34, -v5
	ds_read2_b64 v[9:12], v26 offset0:114 offset1:235
	v_fmac_f32_e32 v37, v40, v46
	v_fma_f32 v36, v40, v47, -v1
	ds_read2_b64 v[46:49], v23 offset1:121
	s_waitcnt lgkmcnt(0)
	v_mul_f32_e32 v1, v39, v11
	v_fma_f32 v41, v38, v12, -v1
	s_waitcnt vmcnt(0)
	v_mul_f32_e32 v30, v45, v10
	v_mul_f32_e32 v5, v43, v48
	;; [unrolled: 1-line block ×3, first 2 shown]
	v_fma_f32 v5, v42, v49, -v5
	v_fmac_f32_e32 v30, v44, v9
	v_fma_f32 v44, v44, v10, -v1
	v_mul_f32_e32 v1, v43, v49
	v_sub_f32_e32 v9, v5, v2
	v_mul_f32_e32 v40, v39, v12
	v_fmac_f32_e32 v1, v42, v48
	v_mul_f32_e32 v10, 0xbf0a6770, v9
	v_mul_f32_e32 v12, 0xbf68dda4, v9
	;; [unrolled: 1-line block ×5, first 2 shown]
	v_add_f32_e32 v6, v1, v16
	v_mov_b32_e32 v45, v9
	v_fmac_f32_e32 v40, v38, v11
	v_fma_f32 v11, v6, s4, -v10
	v_fmac_f32_e32 v10, 0x3f575c64, v6
	v_fma_f32 v14, v6, s0, -v12
	;; [unrolled: 2-line block ×4, first 2 shown]
	v_fmac_f32_e32 v42, 0xbf27a4f4, v6
	v_fmac_f32_e32 v45, 0xbf75a155, v6
	v_fma_f32 v6, v6, s12, -v9
	v_add_f32_e32 v9, v5, v2
	v_mul_f32_e32 v34, 0x3f575c64, v9
	v_sub_f32_e32 v29, v1, v16
	v_mov_b32_e32 v35, v34
	v_add_f32_e32 v1, v1, v46
	v_fmac_f32_e32 v35, 0x3f0a6770, v29
	v_add_f32_e32 v55, v5, v47
	v_add_f32_e32 v1, v1, v30
	;; [unrolled: 1-line block ×15, first 2 shown]
	v_mul_f32_e32 v38, 0x3ed4b147, v9
	v_mul_f32_e32 v48, 0xbe11bafb, v9
	;; [unrolled: 1-line block ×4, first 2 shown]
	v_add_f32_e32 v42, v42, v32
	v_add_f32_e32 v1, v1, v50
	v_mov_b32_e32 v39, v38
	v_mov_b32_e32 v49, v48
	;; [unrolled: 1-line block ×4, first 2 shown]
	v_add_f32_e32 v42, v42, v51
	v_add_f32_e32 v1, v1, v27
	v_fmac_f32_e32 v34, 0xbf0a6770, v29
	v_fmac_f32_e32 v39, 0x3f68dda4, v29
	;; [unrolled: 1-line block ×9, first 2 shown]
	v_add_f32_e32 v42, v42, v31
	v_add_f32_e32 v1, v1, v16
	;; [unrolled: 1-line block ×3, first 2 shown]
	v_sub_f32_e32 v27, v30, v27
	v_add_f32_e32 v30, v44, v31
	v_sub_f32_e32 v31, v44, v31
	v_add_f32_e32 v58, v11, v46
	v_add_f32_e32 v59, v34, v47
	;; [unrolled: 1-line block ×13, first 2 shown]
	v_mul_f32_e32 v42, 0xbf68dda4, v31
	v_add_f32_e32 v47, v41, v51
	v_sub_f32_e32 v41, v41, v51
	v_add_f32_e32 v56, v10, v46
	v_add_f32_e32 v60, v12, v46
	;; [unrolled: 1-line block ×5, first 2 shown]
	v_fma_f32 v43, v16, s0, -v42
	v_fmac_f32_e32 v42, 0x3ed4b147, v16
	v_add_f32_e32 v46, v40, v50
	v_mul_f32_e32 v48, 0xbf7d64f0, v41
	v_add_f32_e32 v42, v42, v56
	v_mul_f32_e32 v44, 0x3ed4b147, v30
	v_fma_f32 v49, v46, s1, -v48
	v_fmac_f32_e32 v48, 0xbe11bafb, v46
	v_mov_b32_e32 v45, v44
	v_add_f32_e32 v42, v48, v42
	v_mul_f32_e32 v48, 0xbe11bafb, v47
	v_fmac_f32_e32 v45, 0x3f68dda4, v27
	v_sub_f32_e32 v40, v40, v50
	v_mov_b32_e32 v50, v48
	v_add_f32_e32 v45, v45, v57
	v_fmac_f32_e32 v50, 0x3f7d64f0, v40
	v_add_f32_e32 v52, v36, v32
	v_sub_f32_e32 v53, v36, v32
	v_add_f32_e32 v45, v50, v45
	v_add_f32_e32 v50, v37, v33
	v_mul_f32_e32 v32, 0xbf4178ce, v53
	v_mul_f32_e32 v36, 0xbf27a4f4, v52
	v_sub_f32_e32 v51, v37, v33
	v_fma_f32 v33, v50, s9, -v32
	v_fmac_f32_e32 v32, 0xbf27a4f4, v50
	v_mov_b32_e32 v37, v36
	v_sub_f32_e32 v55, v3, v7
	v_add_f32_e32 v32, v32, v42
	v_fmac_f32_e32 v37, 0x3f4178ce, v51
	v_add_f32_e32 v42, v4, v8
	v_add_f32_e32 v54, v3, v7
	v_mul_f32_e32 v3, 0xbe903f40, v55
	v_add_f32_e32 v37, v37, v45
	v_sub_f32_e32 v45, v4, v8
	v_fma_f32 v4, v42, s12, -v3
	v_fmac_f32_e32 v3, 0xbf75a155, v42
	v_add_f32_e32 v7, v3, v32
	v_mul_f32_e32 v32, 0xbf75a155, v54
	v_mov_b32_e32 v3, v32
	v_fmac_f32_e32 v3, 0x3e903f40, v45
	v_fmac_f32_e32 v44, 0xbf68dda4, v27
	v_add_f32_e32 v8, v3, v37
	v_add_f32_e32 v3, v43, v58
	v_add_f32_e32 v37, v44, v59
	v_fmac_f32_e32 v48, 0xbf7d64f0, v40
	v_add_f32_e32 v3, v49, v3
	v_add_f32_e32 v37, v48, v37
	v_fmac_f32_e32 v36, 0xbf4178ce, v51
	v_add_f32_e32 v3, v33, v3
	v_add_f32_e32 v33, v36, v37
	;; [unrolled: 3-line block ×3, first 2 shown]
	v_mul_f32_e32 v32, 0xbf4178ce, v31
	v_mul_f32_e32 v37, 0xbf27a4f4, v30
	v_fma_f32 v36, v16, s9, -v32
	v_fmac_f32_e32 v32, 0xbf27a4f4, v16
	v_mov_b32_e32 v33, v37
	v_mul_f32_e32 v43, 0x3e903f40, v41
	v_fmac_f32_e32 v37, 0xbf4178ce, v27
	v_add_f32_e32 v32, v32, v60
	v_fma_f32 v44, v46, s12, -v43
	v_fmac_f32_e32 v43, 0xbf75a155, v46
	v_add_f32_e32 v37, v37, v38
	v_mul_f32_e32 v38, 0x3e903f40, v31
	v_add_f32_e32 v32, v43, v32
	v_mul_f32_e32 v43, 0xbf75a155, v47
	v_add_f32_e32 v36, v36, v39
	v_fma_f32 v39, v16, s12, -v38
	v_fmac_f32_e32 v38, 0xbf75a155, v16
	v_fmac_f32_e32 v33, 0x3f4178ce, v27
	v_mov_b32_e32 v48, v43
	v_fmac_f32_e32 v43, 0x3e903f40, v40
	v_add_f32_e32 v35, v38, v35
	v_mul_f32_e32 v38, 0xbf75a155, v30
	v_add_f32_e32 v33, v33, v61
	v_fmac_f32_e32 v48, 0xbe903f40, v40
	v_add_f32_e32 v37, v43, v37
	v_mov_b32_e32 v43, v38
	v_add_f32_e32 v33, v48, v33
	v_mul_f32_e32 v48, 0x3f7d64f0, v53
	v_fmac_f32_e32 v43, 0xbe903f40, v27
	v_fma_f32 v49, v50, s1, -v48
	v_fmac_f32_e32 v48, 0xbe11bafb, v50
	v_add_f32_e32 v34, v43, v34
	v_mul_f32_e32 v43, 0x3f68dda4, v41
	v_add_f32_e32 v32, v48, v32
	v_mul_f32_e32 v48, 0xbe11bafb, v52
	v_add_f32_e32 v36, v44, v36
	v_fma_f32 v44, v46, s0, -v43
	v_fmac_f32_e32 v43, 0x3ed4b147, v46
	v_mov_b32_e32 v56, v48
	v_fmac_f32_e32 v48, 0x3f7d64f0, v51
	v_add_f32_e32 v35, v43, v35
	v_mul_f32_e32 v43, 0x3ed4b147, v47
	v_fmac_f32_e32 v56, 0xbf7d64f0, v51
	v_add_f32_e32 v37, v48, v37
	v_mov_b32_e32 v48, v43
	v_add_f32_e32 v33, v56, v33
	v_mul_f32_e32 v56, 0x3f0a6770, v55
	v_fmac_f32_e32 v48, 0xbf68dda4, v40
	v_fma_f32 v57, v42, s4, -v56
	v_fmac_f32_e32 v56, 0x3f575c64, v42
	v_add_f32_e32 v34, v48, v34
	v_mul_f32_e32 v48, 0xbf0a6770, v53
	v_add_f32_e32 v32, v56, v32
	v_mul_f32_e32 v56, 0x3f575c64, v54
	v_add_f32_e32 v36, v49, v36
	v_fma_f32 v49, v50, s4, -v48
	v_fmac_f32_e32 v48, 0x3f575c64, v50
	v_mov_b32_e32 v58, v56
	v_fmac_f32_e32 v56, 0x3f0a6770, v45
	v_add_f32_e32 v35, v48, v35
	v_mul_f32_e32 v48, 0x3f575c64, v52
	v_add_f32_e32 v37, v56, v37
	v_mov_b32_e32 v56, v48
	v_fmac_f32_e32 v56, 0x3f0a6770, v51
	v_fmac_f32_e32 v38, 0x3e903f40, v27
	;; [unrolled: 1-line block ×3, first 2 shown]
	v_add_f32_e32 v56, v56, v34
	v_mul_f32_e32 v34, 0xbf4178ce, v55
	v_add_f32_e32 v29, v39, v29
	v_add_f32_e32 v28, v38, v28
	v_fmac_f32_e32 v43, 0x3f68dda4, v40
	v_add_f32_e32 v33, v58, v33
	v_add_f32_e32 v36, v57, v36
	v_fma_f32 v57, v42, s9, -v34
	v_fmac_f32_e32 v34, 0xbf27a4f4, v42
	v_mul_f32_e32 v58, 0xbf27a4f4, v54
	v_add_f32_e32 v29, v44, v29
	v_add_f32_e32 v28, v43, v28
	v_fmac_f32_e32 v48, 0xbf0a6770, v51
	v_add_f32_e32 v34, v34, v35
	v_mov_b32_e32 v35, v58
	v_add_f32_e32 v29, v49, v29
	v_add_f32_e32 v38, v48, v28
	v_fmac_f32_e32 v58, 0xbf4178ce, v45
	v_add_f32_e32 v28, v57, v29
	v_add_f32_e32 v29, v58, v38
	v_mul_f32_e32 v38, 0x3f7d64f0, v31
	v_fma_f32 v39, v16, s1, -v38
	v_fmac_f32_e32 v38, 0xbe11bafb, v16
	v_add_f32_e32 v15, v38, v15
	v_mul_f32_e32 v38, 0xbe11bafb, v30
	v_mov_b32_e32 v43, v38
	v_fmac_f32_e32 v43, 0xbf7d64f0, v27
	v_add_f32_e32 v14, v43, v14
	v_mul_f32_e32 v43, 0xbf0a6770, v41
	v_fma_f32 v44, v46, s4, -v43
	v_fmac_f32_e32 v43, 0x3f575c64, v46
	v_add_f32_e32 v15, v43, v15
	v_mul_f32_e32 v43, 0x3f575c64, v47
	v_mov_b32_e32 v48, v43
	v_fmac_f32_e32 v48, 0x3f0a6770, v40
	v_add_f32_e32 v14, v48, v14
	v_mul_f32_e32 v48, 0xbe903f40, v53
	v_fma_f32 v49, v50, s12, -v48
	v_fmac_f32_e32 v48, 0xbf75a155, v50
	v_fmac_f32_e32 v35, 0x3f4178ce, v45
	v_add_f32_e32 v15, v48, v15
	v_mul_f32_e32 v48, 0xbf75a155, v52
	v_add_f32_e32 v35, v35, v56
	v_mov_b32_e32 v56, v48
	v_fmac_f32_e32 v56, 0x3e903f40, v51
	v_fmac_f32_e32 v38, 0x3f7d64f0, v27
	v_add_f32_e32 v56, v56, v14
	v_mul_f32_e32 v14, 0x3f68dda4, v55
	v_add_f32_e32 v12, v39, v12
	v_add_f32_e32 v11, v38, v11
	v_fmac_f32_e32 v43, 0xbf0a6770, v40
	v_fma_f32 v57, v42, s0, -v14
	v_fmac_f32_e32 v14, 0x3ed4b147, v42
	v_mul_f32_e32 v58, 0x3ed4b147, v54
	v_add_f32_e32 v12, v44, v12
	v_add_f32_e32 v11, v43, v11
	v_fmac_f32_e32 v48, 0xbe903f40, v51
	v_add_f32_e32 v14, v14, v15
	v_mov_b32_e32 v15, v58
	v_add_f32_e32 v12, v49, v12
	v_add_f32_e32 v38, v48, v11
	v_fmac_f32_e32 v58, 0x3f68dda4, v45
	v_mul_f32_e32 v31, 0x3f0a6770, v31
	v_add_f32_e32 v11, v57, v12
	v_add_f32_e32 v12, v58, v38
	v_mov_b32_e32 v38, v31
	v_fmac_f32_e32 v38, 0x3f575c64, v16
	v_mul_f32_e32 v30, 0x3f575c64, v30
	v_add_f32_e32 v10, v38, v10
	v_mov_b32_e32 v38, v30
	v_fmac_f32_e32 v38, 0xbf0a6770, v27
	v_add_f32_e32 v9, v38, v9
	v_mul_f32_e32 v38, 0xbf4178ce, v41
	v_mov_b32_e32 v39, v38
	v_fmac_f32_e32 v39, 0xbf27a4f4, v46
	v_add_f32_e32 v10, v39, v10
	v_mul_f32_e32 v39, 0xbf27a4f4, v47
	;; [unrolled: 4-line block ×4, first 2 shown]
	v_mov_b32_e32 v44, v43
	v_fmac_f32_e32 v44, 0xbf68dda4, v51
	v_mul_f32_e32 v47, 0xbf7d64f0, v55
	v_fma_f32 v16, v16, s4, -v31
	v_fmac_f32_e32 v30, 0x3f0a6770, v27
	v_add_f32_e32 v44, v44, v9
	v_mov_b32_e32 v9, v47
	v_add_f32_e32 v6, v16, v6
	v_add_f32_e32 v5, v30, v5
	v_fma_f32 v16, v46, s9, -v38
	v_fmac_f32_e32 v39, 0xbf4178ce, v40
	v_fmac_f32_e32 v9, 0xbe11bafb, v42
	v_mul_f32_e32 v48, 0xbe11bafb, v54
	v_add_f32_e32 v6, v16, v6
	v_add_f32_e32 v5, v39, v5
	v_fma_f32 v16, v50, s0, -v41
	v_fmac_f32_e32 v43, 0x3f68dda4, v51
	v_add_f32_e32 v9, v9, v10
	v_mov_b32_e32 v10, v48
	v_add_f32_e32 v6, v16, v6
	v_add_f32_e32 v16, v43, v5
	v_fma_f32 v5, v42, s1, -v47
	v_fmac_f32_e32 v48, 0xbf7d64f0, v45
	s_lshl_b64 s[0:1], s[14:15], 3
	s_mul_i32 s4, s22, s8
	v_add_f32_e32 v5, v5, v6
	v_add_f32_e32 v6, v48, v16
	v_mul_lo_u32 v16, v0, s10
	s_add_u32 s2, s2, s0
	s_addc_u32 s3, s3, s1
	s_lshl_b64 s[0:1], s[4:5], 3
	v_fmac_f32_e32 v15, 0xbf68dda4, v45
	v_fmac_f32_e32 v10, 0x3f7d64f0, v45
	s_add_u32 s2, s2, s0
	v_add_f32_e32 v15, v15, v56
	v_add_f32_e32 v10, v10, v44
	s_barrier
	ds_write2_b64 v23, v[1:2], v[7:8] offset1:121
	ds_write2_b64 v26, v[32:33], v[34:35] offset0:114 offset1:235
	ds_write2_b64 v25, v[14:15], v[9:10] offset0:100 offset1:221
	;; [unrolled: 1-line block ×4, first 2 shown]
	ds_write_b64 v23, v[3:4] offset:9680
	s_waitcnt lgkmcnt(0)
	s_barrier
	ds_read2_b64 v[0:3], v18 offset1:121
	s_addc_u32 s3, s3, s1
	s_lshl_b64 s[0:1], s[6:7], 3
	s_add_u32 s0, s2, s0
	v_lshlrev_b64 v[4:5], 3, v[16:17]
	s_addc_u32 s1, s3, s1
	v_mov_b32_e32 v6, s1
	v_add_co_u32_e32 v4, vcc, s0, v4
	s_mul_i32 s2, s10, 0x79
	v_addc_co_u32_e32 v5, vcc, v6, v5, vcc
	v_add_u32_e32 v16, s2, v16
	s_waitcnt lgkmcnt(0)
	global_store_dwordx2 v[4:5], v[0:1], off
	v_lshlrev_b64 v[0:1], 3, v[16:17]
	v_mov_b32_e32 v4, s1
	v_add_co_u32_e32 v0, vcc, s0, v0
	v_addc_co_u32_e32 v1, vcc, v4, v1, vcc
	global_store_dwordx2 v[0:1], v[2:3], off
	v_add_u32_e32 v16, s2, v16
	ds_read2_b64 v[0:3], v22 offset0:114 offset1:235
	v_lshlrev_b64 v[4:5], 3, v[16:17]
	v_add_u32_e32 v16, s2, v16
	v_add_co_u32_e32 v4, vcc, s0, v4
	v_addc_co_u32_e32 v5, vcc, v6, v5, vcc
	s_waitcnt lgkmcnt(0)
	global_store_dwordx2 v[4:5], v[0:1], off
	v_lshlrev_b64 v[0:1], 3, v[16:17]
	v_mov_b32_e32 v4, s1
	v_add_co_u32_e32 v0, vcc, s0, v0
	v_addc_co_u32_e32 v1, vcc, v4, v1, vcc
	global_store_dwordx2 v[0:1], v[2:3], off
	v_add_u32_e32 v16, s2, v16
	ds_read2_b64 v[0:3], v21 offset0:100 offset1:221
	v_lshlrev_b64 v[4:5], 3, v[16:17]
	v_add_u32_e32 v16, s2, v16
	v_add_co_u32_e32 v4, vcc, s0, v4
	v_addc_co_u32_e32 v5, vcc, v6, v5, vcc
	;; [unrolled: 13-line block ×4, first 2 shown]
	s_waitcnt lgkmcnt(0)
	global_store_dwordx2 v[4:5], v[0:1], off
	v_lshlrev_b64 v[0:1], 3, v[16:17]
	v_mov_b32_e32 v4, s1
	v_add_co_u32_e32 v0, vcc, s0, v0
	v_addc_co_u32_e32 v1, vcc, v4, v1, vcc
	global_store_dwordx2 v[0:1], v[2:3], off
	v_add_u32_e32 v16, s2, v16
	ds_read_b64 v[0:1], v18 offset:9680
	v_lshlrev_b64 v[2:3], 3, v[16:17]
	v_add_co_u32_e32 v2, vcc, s0, v2
	v_addc_co_u32_e32 v3, vcc, v4, v3, vcc
	s_waitcnt lgkmcnt(0)
	global_store_dwordx2 v[2:3], v[0:1], off
	s_endpgm
	.section	.rodata,"a",@progbits
	.p2align	6, 0x0
	.amdhsa_kernel fft_rtc_back_len1331_factors_11_11_11_wgs_121_tpt_121_sp_op_CI_CI_sbrc_xy_z_aligned
		.amdhsa_group_segment_fixed_size 0
		.amdhsa_private_segment_fixed_size 0
		.amdhsa_kernarg_size 104
		.amdhsa_user_sgpr_count 6
		.amdhsa_user_sgpr_private_segment_buffer 1
		.amdhsa_user_sgpr_dispatch_ptr 0
		.amdhsa_user_sgpr_queue_ptr 0
		.amdhsa_user_sgpr_kernarg_segment_ptr 1
		.amdhsa_user_sgpr_dispatch_id 0
		.amdhsa_user_sgpr_flat_scratch_init 0
		.amdhsa_user_sgpr_private_segment_size 0
		.amdhsa_uses_dynamic_stack 0
		.amdhsa_system_sgpr_private_segment_wavefront_offset 0
		.amdhsa_system_sgpr_workgroup_id_x 1
		.amdhsa_system_sgpr_workgroup_id_y 0
		.amdhsa_system_sgpr_workgroup_id_z 0
		.amdhsa_system_sgpr_workgroup_info 0
		.amdhsa_system_vgpr_workitem_id 0
		.amdhsa_next_free_vgpr 65
		.amdhsa_next_free_sgpr 36
		.amdhsa_reserve_vcc 1
		.amdhsa_reserve_flat_scratch 0
		.amdhsa_float_round_mode_32 0
		.amdhsa_float_round_mode_16_64 0
		.amdhsa_float_denorm_mode_32 3
		.amdhsa_float_denorm_mode_16_64 3
		.amdhsa_dx10_clamp 1
		.amdhsa_ieee_mode 1
		.amdhsa_fp16_overflow 0
		.amdhsa_exception_fp_ieee_invalid_op 0
		.amdhsa_exception_fp_denorm_src 0
		.amdhsa_exception_fp_ieee_div_zero 0
		.amdhsa_exception_fp_ieee_overflow 0
		.amdhsa_exception_fp_ieee_underflow 0
		.amdhsa_exception_fp_ieee_inexact 0
		.amdhsa_exception_int_div_zero 0
	.end_amdhsa_kernel
	.text
.Lfunc_end0:
	.size	fft_rtc_back_len1331_factors_11_11_11_wgs_121_tpt_121_sp_op_CI_CI_sbrc_xy_z_aligned, .Lfunc_end0-fft_rtc_back_len1331_factors_11_11_11_wgs_121_tpt_121_sp_op_CI_CI_sbrc_xy_z_aligned
                                        ; -- End function
	.section	.AMDGPU.csdata,"",@progbits
; Kernel info:
; codeLenInByte = 8824
; NumSgprs: 40
; NumVgprs: 65
; ScratchSize: 0
; MemoryBound: 0
; FloatMode: 240
; IeeeMode: 1
; LDSByteSize: 0 bytes/workgroup (compile time only)
; SGPRBlocks: 4
; VGPRBlocks: 16
; NumSGPRsForWavesPerEU: 40
; NumVGPRsForWavesPerEU: 65
; Occupancy: 3
; WaveLimiterHint : 1
; COMPUTE_PGM_RSRC2:SCRATCH_EN: 0
; COMPUTE_PGM_RSRC2:USER_SGPR: 6
; COMPUTE_PGM_RSRC2:TRAP_HANDLER: 0
; COMPUTE_PGM_RSRC2:TGID_X_EN: 1
; COMPUTE_PGM_RSRC2:TGID_Y_EN: 0
; COMPUTE_PGM_RSRC2:TGID_Z_EN: 0
; COMPUTE_PGM_RSRC2:TIDIG_COMP_CNT: 0
	.type	__hip_cuid_6da3e1e2b6af2e82,@object ; @__hip_cuid_6da3e1e2b6af2e82
	.section	.bss,"aw",@nobits
	.globl	__hip_cuid_6da3e1e2b6af2e82
__hip_cuid_6da3e1e2b6af2e82:
	.byte	0                               ; 0x0
	.size	__hip_cuid_6da3e1e2b6af2e82, 1

	.ident	"AMD clang version 19.0.0git (https://github.com/RadeonOpenCompute/llvm-project roc-6.4.0 25133 c7fe45cf4b819c5991fe208aaa96edf142730f1d)"
	.section	".note.GNU-stack","",@progbits
	.addrsig
	.addrsig_sym __hip_cuid_6da3e1e2b6af2e82
	.amdgpu_metadata
---
amdhsa.kernels:
  - .args:
      - .actual_access:  read_only
        .address_space:  global
        .offset:         0
        .size:           8
        .value_kind:     global_buffer
      - .offset:         8
        .size:           8
        .value_kind:     by_value
      - .actual_access:  read_only
        .address_space:  global
        .offset:         16
        .size:           8
        .value_kind:     global_buffer
      - .actual_access:  read_only
        .address_space:  global
        .offset:         24
        .size:           8
        .value_kind:     global_buffer
      - .actual_access:  read_only
        .address_space:  global
        .offset:         32
        .size:           8
        .value_kind:     global_buffer
      - .offset:         40
        .size:           8
        .value_kind:     by_value
      - .actual_access:  read_only
        .address_space:  global
        .offset:         48
        .size:           8
        .value_kind:     global_buffer
      - .actual_access:  read_only
        .address_space:  global
        .offset:         56
        .size:           8
        .value_kind:     global_buffer
      - .offset:         64
        .size:           4
        .value_kind:     by_value
      - .actual_access:  read_only
        .address_space:  global
        .offset:         72
        .size:           8
        .value_kind:     global_buffer
      - .actual_access:  read_only
        .address_space:  global
        .offset:         80
        .size:           8
        .value_kind:     global_buffer
      - .actual_access:  read_only
        .address_space:  global
        .offset:         88
        .size:           8
        .value_kind:     global_buffer
      - .actual_access:  write_only
        .address_space:  global
        .offset:         96
        .size:           8
        .value_kind:     global_buffer
    .group_segment_fixed_size: 0
    .kernarg_segment_align: 8
    .kernarg_segment_size: 104
    .language:       OpenCL C
    .language_version:
      - 2
      - 0
    .max_flat_workgroup_size: 121
    .name:           fft_rtc_back_len1331_factors_11_11_11_wgs_121_tpt_121_sp_op_CI_CI_sbrc_xy_z_aligned
    .private_segment_fixed_size: 0
    .sgpr_count:     40
    .sgpr_spill_count: 0
    .symbol:         fft_rtc_back_len1331_factors_11_11_11_wgs_121_tpt_121_sp_op_CI_CI_sbrc_xy_z_aligned.kd
    .uniform_work_group_size: 1
    .uses_dynamic_stack: false
    .vgpr_count:     65
    .vgpr_spill_count: 0
    .wavefront_size: 64
amdhsa.target:   amdgcn-amd-amdhsa--gfx906
amdhsa.version:
  - 1
  - 2
...

	.end_amdgpu_metadata
